;; amdgpu-corpus repo=ROCm/rocFFT kind=compiled arch=gfx1201 opt=O3
	.text
	.amdgcn_target "amdgcn-amd-amdhsa--gfx1201"
	.amdhsa_code_object_version 6
	.protected	fft_rtc_fwd_len176_factors_11_16_wgs_64_tpt_16_halfLds_half_ip_CI_sbrr_dirReg ; -- Begin function fft_rtc_fwd_len176_factors_11_16_wgs_64_tpt_16_halfLds_half_ip_CI_sbrr_dirReg
	.globl	fft_rtc_fwd_len176_factors_11_16_wgs_64_tpt_16_halfLds_half_ip_CI_sbrr_dirReg
	.p2align	8
	.type	fft_rtc_fwd_len176_factors_11_16_wgs_64_tpt_16_halfLds_half_ip_CI_sbrr_dirReg,@function
fft_rtc_fwd_len176_factors_11_16_wgs_64_tpt_16_halfLds_half_ip_CI_sbrr_dirReg: ; @fft_rtc_fwd_len176_factors_11_16_wgs_64_tpt_16_halfLds_half_ip_CI_sbrr_dirReg
; %bb.0:
	s_clause 0x2
	s_load_b64 s[12:13], s[0:1], 0x18
	s_load_b128 s[4:7], s[0:1], 0x0
	s_load_b64 s[10:11], s[0:1], 0x50
	v_lshrrev_b32_e32 v9, 4, v0
	v_mov_b32_e32 v3, 0
	v_mov_b32_e32 v1, 0
	;; [unrolled: 1-line block ×3, first 2 shown]
	s_delay_alu instid0(VALU_DEP_4) | instskip(NEXT) | instid1(VALU_DEP_4)
	v_lshl_or_b32 v5, ttmp9, 2, v9
	v_mov_b32_e32 v6, v3
	s_wait_kmcnt 0x0
	s_load_b64 s[8:9], s[12:13], 0x0
	v_cmp_lt_u64_e64 s2, s[6:7], 2
	s_delay_alu instid0(VALU_DEP_1)
	s_and_b32 vcc_lo, exec_lo, s2
	s_cbranch_vccnz .LBB0_8
; %bb.1:
	s_load_b64 s[2:3], s[0:1], 0x10
	v_mov_b32_e32 v1, 0
	v_mov_b32_e32 v2, 0
	s_add_nc_u64 s[14:15], s[12:13], 8
	s_mov_b64 s[16:17], 1
	s_wait_kmcnt 0x0
	s_add_nc_u64 s[18:19], s[2:3], 8
	s_mov_b32 s3, 0
.LBB0_2:                                ; =>This Inner Loop Header: Depth=1
	s_load_b64 s[20:21], s[18:19], 0x0
                                        ; implicit-def: $vgpr7_vgpr8
	s_mov_b32 s2, exec_lo
	s_wait_kmcnt 0x0
	v_or_b32_e32 v4, s21, v6
	s_delay_alu instid0(VALU_DEP_1)
	v_cmpx_ne_u64_e32 0, v[3:4]
	s_wait_alu 0xfffe
	s_xor_b32 s22, exec_lo, s2
	s_cbranch_execz .LBB0_4
; %bb.3:                                ;   in Loop: Header=BB0_2 Depth=1
	s_cvt_f32_u32 s2, s20
	s_cvt_f32_u32 s23, s21
	s_sub_nc_u64 s[26:27], 0, s[20:21]
	s_wait_alu 0xfffe
	s_delay_alu instid0(SALU_CYCLE_1) | instskip(SKIP_1) | instid1(SALU_CYCLE_2)
	s_fmamk_f32 s2, s23, 0x4f800000, s2
	s_wait_alu 0xfffe
	v_s_rcp_f32 s2, s2
	s_delay_alu instid0(TRANS32_DEP_1) | instskip(SKIP_1) | instid1(SALU_CYCLE_2)
	s_mul_f32 s2, s2, 0x5f7ffffc
	s_wait_alu 0xfffe
	s_mul_f32 s23, s2, 0x2f800000
	s_wait_alu 0xfffe
	s_delay_alu instid0(SALU_CYCLE_2) | instskip(SKIP_1) | instid1(SALU_CYCLE_2)
	s_trunc_f32 s23, s23
	s_wait_alu 0xfffe
	s_fmamk_f32 s2, s23, 0xcf800000, s2
	s_cvt_u32_f32 s25, s23
	s_wait_alu 0xfffe
	s_delay_alu instid0(SALU_CYCLE_1) | instskip(SKIP_1) | instid1(SALU_CYCLE_2)
	s_cvt_u32_f32 s24, s2
	s_wait_alu 0xfffe
	s_mul_u64 s[28:29], s[26:27], s[24:25]
	s_wait_alu 0xfffe
	s_mul_hi_u32 s31, s24, s29
	s_mul_i32 s30, s24, s29
	s_mul_hi_u32 s2, s24, s28
	s_mul_i32 s33, s25, s28
	s_wait_alu 0xfffe
	s_add_nc_u64 s[30:31], s[2:3], s[30:31]
	s_mul_hi_u32 s23, s25, s28
	s_mul_hi_u32 s34, s25, s29
	s_add_co_u32 s2, s30, s33
	s_wait_alu 0xfffe
	s_add_co_ci_u32 s2, s31, s23
	s_mul_i32 s28, s25, s29
	s_add_co_ci_u32 s29, s34, 0
	s_wait_alu 0xfffe
	s_add_nc_u64 s[28:29], s[2:3], s[28:29]
	s_wait_alu 0xfffe
	v_add_co_u32 v4, s2, s24, s28
	s_delay_alu instid0(VALU_DEP_1) | instskip(SKIP_1) | instid1(VALU_DEP_1)
	s_cmp_lg_u32 s2, 0
	s_add_co_ci_u32 s25, s25, s29
	v_readfirstlane_b32 s24, v4
	s_wait_alu 0xfffe
	s_delay_alu instid0(VALU_DEP_1)
	s_mul_u64 s[26:27], s[26:27], s[24:25]
	s_wait_alu 0xfffe
	s_mul_hi_u32 s29, s24, s27
	s_mul_i32 s28, s24, s27
	s_mul_hi_u32 s2, s24, s26
	s_mul_i32 s30, s25, s26
	s_wait_alu 0xfffe
	s_add_nc_u64 s[28:29], s[2:3], s[28:29]
	s_mul_hi_u32 s23, s25, s26
	s_mul_hi_u32 s24, s25, s27
	s_wait_alu 0xfffe
	s_add_co_u32 s2, s28, s30
	s_add_co_ci_u32 s2, s29, s23
	s_mul_i32 s26, s25, s27
	s_add_co_ci_u32 s27, s24, 0
	s_wait_alu 0xfffe
	s_add_nc_u64 s[26:27], s[2:3], s[26:27]
	s_wait_alu 0xfffe
	v_add_co_u32 v4, s2, v4, s26
	s_delay_alu instid0(VALU_DEP_1) | instskip(SKIP_1) | instid1(VALU_DEP_1)
	s_cmp_lg_u32 s2, 0
	s_add_co_ci_u32 s2, s25, s27
	v_mul_hi_u32 v14, v5, v4
	s_wait_alu 0xfffe
	v_mad_co_u64_u32 v[7:8], null, v5, s2, 0
	v_mad_co_u64_u32 v[10:11], null, v6, v4, 0
	;; [unrolled: 1-line block ×3, first 2 shown]
	s_delay_alu instid0(VALU_DEP_3) | instskip(SKIP_1) | instid1(VALU_DEP_4)
	v_add_co_u32 v4, vcc_lo, v14, v7
	s_wait_alu 0xfffd
	v_add_co_ci_u32_e32 v7, vcc_lo, 0, v8, vcc_lo
	s_delay_alu instid0(VALU_DEP_2) | instskip(SKIP_1) | instid1(VALU_DEP_2)
	v_add_co_u32 v4, vcc_lo, v4, v10
	s_wait_alu 0xfffd
	v_add_co_ci_u32_e32 v4, vcc_lo, v7, v11, vcc_lo
	s_wait_alu 0xfffd
	v_add_co_ci_u32_e32 v7, vcc_lo, 0, v13, vcc_lo
	s_delay_alu instid0(VALU_DEP_2) | instskip(SKIP_1) | instid1(VALU_DEP_2)
	v_add_co_u32 v4, vcc_lo, v4, v12
	s_wait_alu 0xfffd
	v_add_co_ci_u32_e32 v10, vcc_lo, 0, v7, vcc_lo
	s_delay_alu instid0(VALU_DEP_2) | instskip(SKIP_1) | instid1(VALU_DEP_3)
	v_mul_lo_u32 v11, s21, v4
	v_mad_co_u64_u32 v[7:8], null, s20, v4, 0
	v_mul_lo_u32 v12, s20, v10
	s_delay_alu instid0(VALU_DEP_2) | instskip(NEXT) | instid1(VALU_DEP_2)
	v_sub_co_u32 v7, vcc_lo, v5, v7
	v_add3_u32 v8, v8, v12, v11
	s_delay_alu instid0(VALU_DEP_1) | instskip(SKIP_1) | instid1(VALU_DEP_1)
	v_sub_nc_u32_e32 v11, v6, v8
	s_wait_alu 0xfffd
	v_subrev_co_ci_u32_e64 v11, s2, s21, v11, vcc_lo
	v_add_co_u32 v12, s2, v4, 2
	s_wait_alu 0xf1ff
	v_add_co_ci_u32_e64 v13, s2, 0, v10, s2
	v_sub_co_u32 v14, s2, v7, s20
	v_sub_co_ci_u32_e32 v8, vcc_lo, v6, v8, vcc_lo
	s_wait_alu 0xf1ff
	v_subrev_co_ci_u32_e64 v11, s2, 0, v11, s2
	s_delay_alu instid0(VALU_DEP_3) | instskip(NEXT) | instid1(VALU_DEP_3)
	v_cmp_le_u32_e32 vcc_lo, s20, v14
	v_cmp_eq_u32_e64 s2, s21, v8
	s_wait_alu 0xfffd
	v_cndmask_b32_e64 v14, 0, -1, vcc_lo
	v_cmp_le_u32_e32 vcc_lo, s21, v11
	s_wait_alu 0xfffd
	v_cndmask_b32_e64 v15, 0, -1, vcc_lo
	v_cmp_le_u32_e32 vcc_lo, s20, v7
	;; [unrolled: 3-line block ×3, first 2 shown]
	s_wait_alu 0xfffd
	v_cndmask_b32_e64 v16, 0, -1, vcc_lo
	v_cmp_eq_u32_e32 vcc_lo, s21, v11
	s_wait_alu 0xf1ff
	s_delay_alu instid0(VALU_DEP_2)
	v_cndmask_b32_e64 v7, v16, v7, s2
	s_wait_alu 0xfffd
	v_cndmask_b32_e32 v11, v15, v14, vcc_lo
	v_add_co_u32 v14, vcc_lo, v4, 1
	s_wait_alu 0xfffd
	v_add_co_ci_u32_e32 v15, vcc_lo, 0, v10, vcc_lo
	s_delay_alu instid0(VALU_DEP_3) | instskip(SKIP_1) | instid1(VALU_DEP_2)
	v_cmp_ne_u32_e32 vcc_lo, 0, v11
	s_wait_alu 0xfffd
	v_dual_cndmask_b32 v8, v15, v13 :: v_dual_cndmask_b32 v11, v14, v12
	v_cmp_ne_u32_e32 vcc_lo, 0, v7
	s_wait_alu 0xfffd
	s_delay_alu instid0(VALU_DEP_2)
	v_dual_cndmask_b32 v8, v10, v8 :: v_dual_cndmask_b32 v7, v4, v11
.LBB0_4:                                ;   in Loop: Header=BB0_2 Depth=1
	s_wait_alu 0xfffe
	s_and_not1_saveexec_b32 s2, s22
	s_cbranch_execz .LBB0_6
; %bb.5:                                ;   in Loop: Header=BB0_2 Depth=1
	v_cvt_f32_u32_e32 v4, s20
	s_sub_co_i32 s22, 0, s20
	s_delay_alu instid0(VALU_DEP_1) | instskip(NEXT) | instid1(TRANS32_DEP_1)
	v_rcp_iflag_f32_e32 v4, v4
	v_mul_f32_e32 v4, 0x4f7ffffe, v4
	s_delay_alu instid0(VALU_DEP_1) | instskip(SKIP_1) | instid1(VALU_DEP_1)
	v_cvt_u32_f32_e32 v4, v4
	s_wait_alu 0xfffe
	v_mul_lo_u32 v7, s22, v4
	s_delay_alu instid0(VALU_DEP_1) | instskip(NEXT) | instid1(VALU_DEP_1)
	v_mul_hi_u32 v7, v4, v7
	v_add_nc_u32_e32 v4, v4, v7
	s_delay_alu instid0(VALU_DEP_1) | instskip(NEXT) | instid1(VALU_DEP_1)
	v_mul_hi_u32 v4, v5, v4
	v_mul_lo_u32 v7, v4, s20
	v_add_nc_u32_e32 v8, 1, v4
	s_delay_alu instid0(VALU_DEP_2) | instskip(NEXT) | instid1(VALU_DEP_1)
	v_sub_nc_u32_e32 v7, v5, v7
	v_subrev_nc_u32_e32 v10, s20, v7
	v_cmp_le_u32_e32 vcc_lo, s20, v7
	s_wait_alu 0xfffd
	s_delay_alu instid0(VALU_DEP_2) | instskip(NEXT) | instid1(VALU_DEP_1)
	v_dual_cndmask_b32 v7, v7, v10 :: v_dual_cndmask_b32 v4, v4, v8
	v_cmp_le_u32_e32 vcc_lo, s20, v7
	s_delay_alu instid0(VALU_DEP_2) | instskip(SKIP_1) | instid1(VALU_DEP_1)
	v_add_nc_u32_e32 v8, 1, v4
	s_wait_alu 0xfffd
	v_dual_cndmask_b32 v7, v4, v8 :: v_dual_mov_b32 v8, v3
.LBB0_6:                                ;   in Loop: Header=BB0_2 Depth=1
	s_wait_alu 0xfffe
	s_or_b32 exec_lo, exec_lo, s2
	s_load_b64 s[22:23], s[14:15], 0x0
	s_delay_alu instid0(VALU_DEP_1)
	v_mul_lo_u32 v4, v8, s20
	v_mul_lo_u32 v12, v7, s21
	v_mad_co_u64_u32 v[10:11], null, v7, s20, 0
	s_add_nc_u64 s[16:17], s[16:17], 1
	s_add_nc_u64 s[14:15], s[14:15], 8
	s_wait_alu 0xfffe
	v_cmp_ge_u64_e64 s2, s[16:17], s[6:7]
	s_add_nc_u64 s[18:19], s[18:19], 8
	s_delay_alu instid0(VALU_DEP_2) | instskip(NEXT) | instid1(VALU_DEP_3)
	v_add3_u32 v4, v11, v12, v4
	v_sub_co_u32 v5, vcc_lo, v5, v10
	s_wait_alu 0xfffd
	s_delay_alu instid0(VALU_DEP_2) | instskip(SKIP_3) | instid1(VALU_DEP_2)
	v_sub_co_ci_u32_e32 v4, vcc_lo, v6, v4, vcc_lo
	s_and_b32 vcc_lo, exec_lo, s2
	s_wait_kmcnt 0x0
	v_mul_lo_u32 v6, s23, v5
	v_mul_lo_u32 v4, s22, v4
	v_mad_co_u64_u32 v[1:2], null, s22, v5, v[1:2]
	s_delay_alu instid0(VALU_DEP_1)
	v_add3_u32 v2, v6, v2, v4
	s_wait_alu 0xfffe
	s_cbranch_vccnz .LBB0_9
; %bb.7:                                ;   in Loop: Header=BB0_2 Depth=1
	v_dual_mov_b32 v5, v7 :: v_dual_mov_b32 v6, v8
	s_branch .LBB0_2
.LBB0_8:
	v_dual_mov_b32 v8, v6 :: v_dual_mov_b32 v7, v5
.LBB0_9:
	s_lshl_b64 s[2:3], s[6:7], 3
	v_and_b32_e32 v21, 15, v0
	s_wait_alu 0xfffe
	s_add_nc_u64 s[2:3], s[12:13], s[2:3]
                                        ; implicit-def: $vgpr35
                                        ; implicit-def: $vgpr36
                                        ; implicit-def: $vgpr17
                                        ; implicit-def: $vgpr34
                                        ; implicit-def: $vgpr16
                                        ; implicit-def: $vgpr33
                                        ; implicit-def: $vgpr14
                                        ; implicit-def: $vgpr15
                                        ; implicit-def: $vgpr11
                                        ; implicit-def: $vgpr12
                                        ; implicit-def: $vgpr10
                                        ; implicit-def: $vgpr13
                                        ; implicit-def: $vgpr18
                                        ; implicit-def: $vgpr37
                                        ; implicit-def: $vgpr6
                                        ; implicit-def: $vgpr38
                                        ; implicit-def: $vgpr5
                                        ; implicit-def: $vgpr39
	s_load_b64 s[2:3], s[2:3], 0x0
	s_load_b64 s[0:1], s[0:1], 0x20
	s_wait_kmcnt 0x0
	v_mul_lo_u32 v3, s2, v8
	v_mul_lo_u32 v4, s3, v7
	v_mad_co_u64_u32 v[1:2], null, s2, v7, v[1:2]
	v_cmp_gt_u64_e32 vcc_lo, s[0:1], v[7:8]
                                        ; implicit-def: $vgpr8
                                        ; implicit-def: $vgpr7
	s_delay_alu instid0(VALU_DEP_2) | instskip(SKIP_1) | instid1(VALU_DEP_2)
	v_add3_u32 v2, v4, v2, v3
	v_mov_b32_e32 v4, 0
	v_lshlrev_b64_e32 v[19:20], 2, v[1:2]
	s_and_saveexec_b32 s1, vcc_lo
	s_cbranch_execz .LBB0_11
; %bb.10:
	v_or_b32_e32 v7, 16, v21
	v_mad_co_u64_u32 v[0:1], null, s8, v21, 0
	v_or_b32_e32 v12, 32, v21
	v_or_b32_e32 v13, 48, v21
	s_delay_alu instid0(VALU_DEP_4) | instskip(SKIP_2) | instid1(VALU_DEP_4)
	v_mad_co_u64_u32 v[2:3], null, s8, v7, 0
	v_or_b32_e32 v14, 64, v21
	v_or_b32_e32 v16, 0x50, v21
	v_mad_co_u64_u32 v[10:11], null, s8, v13, 0
	v_or_b32_e32 v18, 0x60, v21
	v_or_b32_e32 v25, 0x70, v21
	v_mad_co_u64_u32 v[4:5], null, s9, v21, v[1:2]
	v_mad_co_u64_u32 v[5:6], null, s8, v12, 0
	v_or_b32_e32 v27, 0x80, v21
	v_add_co_u32 v32, s0, s10, v19
	s_wait_alu 0xf1ff
	v_add_co_ci_u32_e64 v33, s0, s11, v20, s0
	v_mad_co_u64_u32 v[7:8], null, s9, v7, v[3:4]
	v_dual_mov_b32 v1, v4 :: v_dual_mov_b32 v4, v6
	s_delay_alu instid0(VALU_DEP_1) | instskip(NEXT) | instid1(VALU_DEP_3)
	v_lshlrev_b64_e32 v[0:1], 2, v[0:1]
	v_mov_b32_e32 v3, v7
	s_delay_alu instid0(VALU_DEP_3) | instskip(SKIP_2) | instid1(VALU_DEP_4)
	v_mad_co_u64_u32 v[6:7], null, s9, v12, v[4:5]
	v_mov_b32_e32 v4, v11
	v_mad_co_u64_u32 v[7:8], null, s8, v14, 0
	v_lshlrev_b64_e32 v[2:3], 2, v[2:3]
	v_add_co_u32 v0, s0, v32, v0
	s_delay_alu instid0(VALU_DEP_4)
	v_mad_co_u64_u32 v[11:12], null, s9, v13, v[4:5]
	v_lshlrev_b64_e32 v[4:5], 2, v[5:6]
	v_mov_b32_e32 v6, v8
	v_mad_co_u64_u32 v[12:13], null, s8, v16, 0
	s_wait_alu 0xf1ff
	v_add_co_ci_u32_e64 v1, s0, v33, v1, s0
	s_delay_alu instid0(VALU_DEP_3) | instskip(SKIP_1) | instid1(VALU_DEP_4)
	v_mad_co_u64_u32 v[14:15], null, s9, v14, v[6:7]
	v_add_co_u32 v2, s0, v32, v2
	v_mov_b32_e32 v6, v13
	v_lshlrev_b64_e32 v[10:11], 2, v[10:11]
	s_wait_alu 0xf1ff
	v_add_co_ci_u32_e64 v3, s0, v33, v3, s0
	v_mov_b32_e32 v8, v14
	v_mad_co_u64_u32 v[13:14], null, s9, v16, v[6:7]
	v_mad_co_u64_u32 v[14:15], null, s8, v18, 0
	s_delay_alu instid0(VALU_DEP_3)
	v_lshlrev_b64_e32 v[6:7], 2, v[7:8]
	v_mad_co_u64_u32 v[16:17], null, s8, v25, 0
	v_add_co_u32 v4, s0, v32, v4
	s_wait_alu 0xf1ff
	v_add_co_ci_u32_e64 v5, s0, v33, v5, s0
	v_mov_b32_e32 v8, v15
	v_add_co_u32 v10, s0, v32, v10
	v_lshlrev_b64_e32 v[12:13], 2, v[12:13]
	s_wait_alu 0xf1ff
	v_add_co_ci_u32_e64 v11, s0, v33, v11, s0
	v_mad_co_u64_u32 v[22:23], null, s9, v18, v[8:9]
	v_mad_co_u64_u32 v[23:24], null, s8, v27, 0
	v_mov_b32_e32 v8, v17
	v_add_co_u32 v6, s0, v32, v6
	s_wait_alu 0xf1ff
	v_add_co_ci_u32_e64 v7, s0, v33, v7, s0
	v_mov_b32_e32 v15, v22
	v_or_b32_e32 v22, 0x90, v21
	v_mad_co_u64_u32 v[17:18], null, s9, v25, v[8:9]
	v_mov_b32_e32 v8, v24
	v_or_b32_e32 v18, 0xa0, v21
	s_delay_alu instid0(VALU_DEP_4) | instskip(SKIP_1) | instid1(VALU_DEP_4)
	v_mad_co_u64_u32 v[25:26], null, s8, v22, 0
	v_lshlrev_b64_e32 v[14:15], 2, v[14:15]
	v_mad_co_u64_u32 v[27:28], null, s9, v27, v[8:9]
	s_delay_alu instid0(VALU_DEP_4)
	v_mad_co_u64_u32 v[28:29], null, s8, v18, 0
	v_add_co_u32 v12, s0, v32, v12
	v_mov_b32_e32 v8, v26
	s_wait_alu 0xf1ff
	v_add_co_ci_u32_e64 v13, s0, v33, v13, s0
	v_mov_b32_e32 v24, v27
	v_add_co_u32 v30, s0, v32, v14
	v_mad_co_u64_u32 v[26:27], null, s9, v22, v[8:9]
	v_mov_b32_e32 v8, v29
	s_wait_alu 0xf1ff
	v_add_co_ci_u32_e64 v31, s0, v33, v15, s0
	v_lshlrev_b64_e32 v[14:15], 2, v[16:17]
	s_delay_alu instid0(VALU_DEP_3) | instskip(SKIP_1) | instid1(VALU_DEP_3)
	v_mad_co_u64_u32 v[16:17], null, s9, v18, v[8:9]
	v_lshlrev_b64_e32 v[17:18], 2, v[23:24]
	v_add_co_u32 v22, s0, v32, v14
	s_wait_alu 0xf1ff
	s_delay_alu instid0(VALU_DEP_4) | instskip(NEXT) | instid1(VALU_DEP_4)
	v_add_co_ci_u32_e64 v23, s0, v33, v15, s0
	v_mov_b32_e32 v29, v16
	v_lshlrev_b64_e32 v[14:15], 2, v[25:26]
	v_add_co_u32 v16, s0, v32, v17
	s_wait_alu 0xf1ff
	v_add_co_ci_u32_e64 v17, s0, v33, v18, s0
	v_lshlrev_b64_e32 v[24:25], 2, v[28:29]
	s_delay_alu instid0(VALU_DEP_4) | instskip(SKIP_2) | instid1(VALU_DEP_3)
	v_add_co_u32 v26, s0, v32, v14
	s_wait_alu 0xf1ff
	v_add_co_ci_u32_e64 v27, s0, v33, v15, s0
	v_add_co_u32 v24, s0, v32, v24
	s_wait_alu 0xf1ff
	v_add_co_ci_u32_e64 v25, s0, v33, v25, s0
	s_clause 0xa
	global_load_b32 v36, v[2:3], off
	global_load_b32 v34, v[4:5], off
	;; [unrolled: 1-line block ×11, first 2 shown]
	s_wait_loadcnt 0xa
	v_lshrrev_b32_e32 v35, 16, v36
	s_wait_loadcnt 0x9
	v_lshrrev_b32_e32 v17, 16, v34
	s_wait_loadcnt 0x8
	v_lshrrev_b32_e32 v16, 16, v33
	s_wait_loadcnt 0x7
	v_lshrrev_b32_e32 v14, 16, v15
	s_wait_loadcnt 0x6
	v_lshrrev_b32_e32 v11, 16, v12
	s_wait_loadcnt 0x5
	v_lshrrev_b32_e32 v10, 16, v13
	s_wait_loadcnt 0x4
	v_lshrrev_b32_e32 v8, 16, v18
	s_wait_loadcnt 0x3
	v_lshrrev_b32_e32 v7, 16, v37
	s_wait_loadcnt 0x2
	v_lshrrev_b32_e32 v6, 16, v38
	s_wait_loadcnt 0x1
	v_lshrrev_b32_e32 v5, 16, v39
.LBB0_11:
	s_wait_alu 0xfffe
	s_or_b32 exec_lo, exec_lo, s1
	s_wait_loadcnt 0x0
	v_add_f16_e32 v0, v36, v4
	v_sub_f16_e32 v2, v35, v5
	v_mul_u32_u24_e32 v27, 0xb0, v9
	v_add_f16_e32 v1, v36, v39
	v_sub_f16_e32 v9, v17, v6
	v_add_f16_e32 v0, v34, v0
	v_mul_f16_e32 v31, 0xb482, v2
	v_add_f16_e32 v3, v34, v38
	v_sub_f16_e32 v24, v16, v7
	v_mul_f16_e32 v40, 0x3853, v9
	v_add_f16_e32 v0, v33, v0
	v_fma_f16 v23, v1, 0xbbad, -v31
	v_add_f16_e32 v25, v33, v37
	v_sub_f16_e32 v28, v14, v8
	v_mul_f16_e32 v42, 0xba0c, v24
	v_add_f16_e32 v0, v15, v0
	v_fma_f16 v47, v3, 0x3abb, -v40
	v_add_f16_e32 v23, v23, v4
	v_add_f16_e32 v26, v15, v18
	v_mul_f16_e32 v44, 0x3b47, v28
	v_add_f16_e32 v0, v12, v0
	v_pk_mul_f16 v22, 0x36a63abb, v1 op_sel_hi:[1,0]
	v_fma_f16 v49, v25, 0xb93d, -v42
	v_add_f16_e32 v23, v47, v23
	v_pk_mul_f16 v45, 0xb93d36a6, v3 op_sel_hi:[1,0]
	v_add_f16_e32 v0, v13, v0
	v_pk_fma_f16 v50, 0xbb47b853, v2, v22 op_sel_hi:[1,0,1] neg_lo:[0,1,0] neg_hi:[0,1,0]
	v_fma_f16 v47, v26, 0x36a6, -v44
	v_add_f16_e32 v23, v49, v23
	v_pk_fma_f16 v49, 0xbb47b853, v2, v22 op_sel_hi:[1,0,1]
	v_add_f16_e32 v0, v18, v0
	v_pk_mul_f16 v46, 0xbbadb08e, v25 op_sel_hi:[1,0]
	v_pk_fma_f16 v51, 0xba0cbb47, v9, v45 op_sel_hi:[1,0,1] neg_lo:[0,1,0] neg_hi:[0,1,0]
	v_pk_add_f16 v50, v50, v4 op_sel_hi:[1,0]
	v_add_f16_e32 v47, v47, v23
	v_add_f16_e32 v0, v37, v0
	v_pk_fma_f16 v23, 0xba0cbb47, v9, v45 op_sel_hi:[1,0,1]
	v_add_f16_e32 v29, v12, v13
	v_pk_mul_f16 v48, 0xb08eb93d, v26 op_sel_hi:[1,0]
	v_pk_fma_f16 v52, 0x3482bbeb, v24, v46 op_sel_hi:[1,0,1] neg_lo:[0,1,0] neg_hi:[0,1,0]
	v_add_f16_e32 v0, v38, v0
	v_pk_add_f16 v50, v51, v50
	v_pk_mul_f16 v2, 0xba0cbbeb, v2 op_sel_hi:[1,0]
	v_sub_f16_e32 v45, v11, v10
	v_pk_mul_f16 v51, 0x3abbbbad, v29 op_sel_hi:[1,0]
	v_add_f16_e32 v22, v39, v0
	v_pk_add_f16 v0, v49, v4 op_sel_hi:[1,0]
	v_pk_add_f16 v49, v52, v50
	v_pk_fma_f16 v50, 0x3bebba0c, v28, v48 op_sel_hi:[1,0,1] neg_lo:[0,1,0] neg_hi:[0,1,0]
	v_pk_fma_f16 v48, 0x3bebba0c, v28, v48 op_sel_hi:[1,0,1]
	v_mul_f16_e32 v30, 0xbbad, v1
	v_pk_add_f16 v0, v23, v0
	v_pk_fma_f16 v23, 0x3482bbeb, v24, v46 op_sel_hi:[1,0,1]
	v_pk_mul_f16 v46, 0xb93db08e, v1 op_sel_hi:[1,0]
	v_pk_mul_f16 v9, 0x3beb3482, v9 op_sel_hi:[1,0]
	v_pk_fma_f16 v1, 0xb93db08e, v1, v2 op_sel_hi:[1,0,1] neg_lo:[0,0,1] neg_hi:[0,0,1]
	v_mul_f16_e32 v32, 0x3abb, v3
	v_pk_add_f16 v0, v23, v0
	v_add_f16_e32 v52, v2, v46
	v_pk_add_f16 v49, v50, v49
	v_pk_fma_f16 v50, 0x3853b482, v45, v51 op_sel_hi:[1,0,1] neg_lo:[0,1,0] neg_hi:[0,1,0]
	v_pk_mul_f16 v53, 0xb08ebbad, v3 op_sel_hi:[1,0]
	v_pk_add_f16 v0, v48, v0
	v_add_f16_e32 v48, v52, v4
	v_pk_mul_f16 v52, 0xb8533b47, v24 op_sel_hi:[1,0]
	v_pk_fma_f16 v24, 0x3853b482, v45, v51 op_sel_hi:[1,0,1]
	v_pk_add_f16 v1, v1, v4 op_sel_hi:[1,0]
	v_pk_fma_f16 v3, 0xb08ebbad, v3, v9 op_sel_hi:[1,0,1] neg_lo:[0,0,1] neg_hi:[0,0,1]
	v_mul_f16_e32 v41, 0xb93d, v25
	v_pk_add_f16 v23, v50, v49
	v_pk_add_f16 v24, v24, v0
	v_bfi_b32 v0, 0xffff, v31, v2
	v_bfi_b32 v2, 0xffff, v30, v46
	v_add_f16_e32 v49, v9, v53
	v_pk_mul_f16 v50, 0x3abb36a6, v25 op_sel_hi:[1,0]
	v_pk_add_f16 v1, v3, v1
	v_pk_fma_f16 v25, 0x3abb36a6, v25, v52 op_sel_hi:[1,0,1] neg_lo:[0,0,1] neg_hi:[0,0,1]
	v_pk_mul_f16 v28, 0xb482b853, v28 op_sel_hi:[1,0]
	v_pk_add_f16 v0, v0, v2
	v_bfi_b32 v2, 0xffff, v40, v9
	v_bfi_b32 v9, 0xffff, v32, v53
	v_mul_f16_e32 v43, 0x36a6, v26
	v_pk_add_f16 v1, v25, v1
	v_pk_mul_f16 v25, 0xbbad3abb, v26 op_sel_hi:[1,0]
	v_pk_fma_f16 v26, 0xbbad3abb, v26, v28 op_sel_hi:[1,0,1] neg_lo:[0,0,1] neg_hi:[0,0,1]
	v_pk_add_f16 v0, v0, v4 op_sel_hi:[1,0]
	v_pk_add_f16 v2, v2, v9
	v_bfi_b32 v9, 0xffff, v42, v52
	v_bfi_b32 v30, 0xffff, v41, v50
	v_pk_add_f16 v1, v26, v1
	v_pk_mul_f16 v31, 0x36a6b93d, v29 op_sel_hi:[1,0]
	v_pk_mul_f16 v32, 0x3b47ba0c, v45 op_sel_hi:[1,0]
	v_pk_add_f16 v0, v2, v0
	v_pk_add_f16 v2, v9, v30
	v_bfi_b32 v9, 0xffff, v44, v28
	v_bfi_b32 v26, 0xffff, v43, v25
	v_mul_f16_e32 v30, 0xbbeb, v45
	v_mul_f16_e32 v40, 0xb08e, v29
	v_add_f16_e32 v48, v49, v48
	v_add_f16_e32 v49, v52, v50
	v_pk_fma_f16 v41, 0x36a6b93d, v29, v32 op_sel_hi:[1,0,1] neg_lo:[0,0,1] neg_hi:[0,0,1]
	v_pk_add_f16 v0, v2, v0
	v_pk_add_f16 v2, v9, v26
	v_bfi_b32 v9, 0xffff, v30, v32
	v_bfi_b32 v26, 0xffff, v40, v31
	v_fma_f16 v29, v29, 0xb08e, -v30
	v_add_f16_e32 v3, v49, v48
	v_add_f16_e32 v28, v28, v25
	v_pk_add_f16 v25, v41, v1
	v_pk_add_f16 v0, v2, v0
	;; [unrolled: 1-line block ×3, first 2 shown]
	v_mad_u32_u24 v40, v21, 22, 0
	v_add_f16_e32 v26, v29, v47
	v_add_f16_e32 v28, v28, v3
	;; [unrolled: 1-line block ×3, first 2 shown]
	v_pk_add_f16 v3, v1, v0
	v_lshl_add_u32 v9, v27, 1, v40
	v_alignbit_b32 v2, v26, v25, 16
	v_alignbit_b32 v1, v25, v23, 16
	v_pack_b32_f16 v0, v22, v23
	v_add_f16_e32 v29, v29, v28
	v_alignbit_b32 v28, v24, v24, 16
	ds_store_b128 v9, v[0:3]
	ds_store_b16 v9, v29 offset:16
	ds_store_b32 v9, v28 offset:18
	v_cmp_gt_u32_e64 s0, 11, v21
	v_lshlrev_b32_e32 v0, 1, v27
	v_lshlrev_b32_e32 v1, 1, v21
	global_wb scope:SCOPE_SE
	s_wait_dscnt 0x0
	s_barrier_signal -1
	s_barrier_wait -1
	global_inv scope:SCOPE_SE
                                        ; implicit-def: $vgpr31
                                        ; implicit-def: $vgpr27
                                        ; implicit-def: $vgpr28
                                        ; implicit-def: $vgpr32
                                        ; implicit-def: $vgpr30
	s_and_saveexec_b32 s1, s0
	s_cbranch_execz .LBB0_13
; %bb.12:
	v_mul_i32_i24_e32 v2, 0xffffffec, v21
	v_add3_u32 v22, 0, v0, v1
	s_delay_alu instid0(VALU_DEP_2)
	v_add3_u32 v2, v40, v2, v0
	ds_load_u16 v23, v2 offset:22
	ds_load_u16 v25, v2 offset:66
	;; [unrolled: 1-line block ×4, first 2 shown]
	ds_load_u16 v22, v22
	ds_load_u16 v26, v2 offset:110
	ds_load_u16 v29, v2 offset:176
	;; [unrolled: 1-line block ×3, first 2 shown]
	s_wait_dscnt 0x7
	ds_load_u16_d16_hi v23, v2 offset:44
	s_wait_dscnt 0x7
	ds_load_u16_d16_hi v25, v2 offset:88
	s_wait_dscnt 0x7
	ds_load_u16_d16_hi v24, v2 offset:198
	ds_load_u16 v27, v2 offset:264
	ds_load_u16 v30, v2 offset:330
	s_wait_dscnt 0x9
	ds_load_u16_d16_hi v3, v2 offset:154
	ds_load_u16 v31, v2 offset:242
	ds_load_u16 v32, v2 offset:308
.LBB0_13:
	s_wait_alu 0xfffe
	s_or_b32 exec_lo, exec_lo, s1
	v_sub_f16_e32 v2, v36, v39
	v_lshrrev_b32_e32 v36, 16, v4
	v_add_f16_e32 v39, v35, v5
	v_sub_f16_e32 v34, v34, v38
	v_add_f16_e32 v40, v17, v6
	v_mul_f16_e32 v38, 0xb482, v2
	v_sub_f16_e32 v37, v33, v37
	v_add_f16_e32 v33, v35, v36
	v_mul_f16_e32 v35, 0x3853, v34
	v_add_f16_e32 v41, v16, v7
	v_fma_f16 v42, v39, 0xbbad, -v38
	v_mul_f16_e32 v44, 0xba0c, v37
	v_add_f16_e32 v17, v17, v33
	v_fma_f16 v33, v40, 0x3abb, -v35
	v_sub_f16_e32 v15, v15, v18
	v_add_f16_e32 v36, v42, v36
	v_fma_f16 v42, v41, 0xb93d, -v44
	v_add_f16_e32 v16, v16, v17
	v_add_f16_e32 v43, v14, v8
	v_pk_mul_f16 v46, 0xba0c3482, v34 op_sel_hi:[1,0]
	v_add_f16_e32 v17, v33, v36
	v_pk_mul_f16 v33, 0xbb47bbeb, v2 op_sel_hi:[1,0]
	;; [unrolled: 2-line block ×3, first 2 shown]
	v_pk_fma_f16 v49, 0xb93dbbad, v40, v46 op_sel_hi:[1,0,1] neg_lo:[0,0,1] neg_hi:[0,0,1]
	v_add_f16_e32 v16, v42, v17
	v_mul_f16_e32 v17, 0x3b47, v15
	v_pk_fma_f16 v42, 0x36a6b08e, v39, v33 op_sel_hi:[1,0,1] neg_lo:[0,0,1] neg_hi:[0,0,1]
	v_pk_fma_f16 v33, 0x36a6b08e, v39, v33 op_sel_hi:[1,0,1]
	v_pk_fma_f16 v46, 0xb93dbbad, v40, v46 op_sel_hi:[1,0,1]
	v_sub_f16_e32 v12, v12, v13
	v_fma_f16 v48, v43, 0x36a6, -v17
	v_pk_add_f16 v42, v42, v4 op_sel:[0,1]
	v_pk_add_f16 v33, v33, v4 op_sel:[0,1]
	v_pk_mul_f16 v2, 0xba0cb853, v2 op_sel_hi:[1,0]
	v_pk_mul_f16 v34, 0x3bebbb47, v34 op_sel_hi:[1,0]
	v_add_f16_e32 v16, v48, v16
	v_pk_add_f16 v42, v49, v42
	v_pk_fma_f16 v48, 0xbbad36a6, v41, v50 op_sel_hi:[1,0,1] neg_lo:[0,0,1] neg_hi:[0,0,1]
	v_pk_mul_f16 v49, 0x3bebb853, v15 op_sel_hi:[1,0]
	v_pk_add_f16 v33, v46, v33
	v_pk_fma_f16 v46, 0xbbad36a6, v41, v50 op_sel_hi:[1,0,1]
	v_pack_b32_f16 v14, v14, v2
	v_pk_add_f16 v13, v48, v42
	v_pk_fma_f16 v42, 0xb08e3abb, v43, v49 op_sel_hi:[1,0,1] neg_lo:[0,0,1] neg_hi:[0,0,1]
	v_add_f16_e32 v48, v11, v10
	v_pk_add_f16 v33, v46, v33
	v_pk_fma_f16 v46, 0xb08e3abb, v43, v49 op_sel_hi:[1,0,1]
	v_pk_mul_f16 v49, 0x3853ba0c, v12 op_sel_hi:[1,0]
	v_pk_add_f16 v13, v42, v13
	v_pk_mul_f16 v42, 0xb93d3abb, v39 op_sel_hi:[1,0]
	v_mul_f16_e32 v18, 0xbbad, v39
	v_pk_add_f16 v33, v46, v33
	v_pk_fma_f16 v46, 0x3abbb93d, v48, v49 op_sel_hi:[1,0,1]
	v_pk_fma_f16 v39, 0xb93d3abb, v39, v2 op_sel_hi:[1,0,1] neg_lo:[0,0,1] neg_hi:[0,0,1]
	v_perm_b32 v11, v42, v11, 0x5040100
	v_bfi_b32 v10, 0xffff, v10, v4
	v_pk_mul_f16 v37, 0xb853bbeb, v37 op_sel_hi:[1,0]
	v_mul_f16_e32 v36, 0x3abb, v40
	v_pk_add_f16 v33, v46, v33
	v_pk_add_f16 v11, v11, v14
	v_pk_fma_f16 v14, 0xb08e36a6, v40, v34 op_sel_hi:[1,0,1]
	v_pk_add_f16 v39, v39, v4 op_sel:[0,1]
	v_pk_mul_f16 v46, 0xb08e36a6, v40 op_sel_hi:[1,0]
	v_pk_fma_f16 v40, 0xb08e36a6, v40, v34 op_sel_hi:[1,0,1] neg_lo:[0,0,1] neg_hi:[0,0,1]
	v_pk_mul_f16 v15, 0xb482ba0c, v15 op_sel_hi:[1,0]
	v_pk_add_f16 v10, v10, v11
	v_perm_b32 v8, v14, v8, 0x5040100
	v_pk_fma_f16 v11, 0x3abbb08e, v41, v37 op_sel_hi:[1,0,1]
	v_pk_add_f16 v14, v40, v39
	v_pk_fma_f16 v40, 0xbbadb93d, v43, v15 op_sel_hi:[1,0,1]
	v_pk_fma_f16 v39, 0x3abbb08e, v41, v37 op_sel_hi:[1,0,1] neg_lo:[0,0,1] neg_hi:[0,0,1]
	v_pk_add_f16 v8, v8, v10
	v_perm_b32 v7, v11, v7, 0x5040100
	v_alignbit_b32 v10, v18, v42, 16
	v_alignbit_b32 v2, v38, v2, 16
	v_perm_b32 v6, v40, v6, 0x5040100
	v_mul_f16_e32 v45, 0xb93d, v41
	v_pk_add_f16 v7, v7, v8
	v_pk_mul_f16 v11, 0x3abbb08e, v41 op_sel_hi:[1,0]
	v_pk_add_f16 v14, v39, v14
	v_pk_add_f16 v2, v10, v2
	v_alignbit_b32 v8, v36, v46, 16
	v_alignbit_b32 v10, v35, v34, 16
	v_pk_add_f16 v6, v6, v7
	v_pk_fma_f16 v7, 0xbbadb93d, v43, v15 op_sel_hi:[1,0,1] neg_lo:[0,0,1] neg_hi:[0,0,1]
	v_mul_f16_e32 v47, 0x36a6, v43
	v_pk_mul_f16 v18, 0xbbadb93d, v43 op_sel_hi:[1,0]
	v_pk_add_f16 v2, v2, v4 op_sel:[0,1]
	v_pk_add_f16 v4, v8, v10
	v_alignbit_b32 v8, v45, v11, 16
	v_alignbit_b32 v10, v44, v37, 16
	v_pk_add_f16 v7, v7, v14
	v_pk_mul_f16 v14, 0x3b47b482, v12 op_sel_hi:[1,0]
	v_pk_mul_f16 v11, 0x36a6bbad, v48 op_sel_hi:[1,0]
	v_pk_add_f16 v2, v4, v2
	v_pk_add_f16 v4, v8, v10
	v_alignbit_b32 v8, v47, v18, 16
	v_alignbit_b32 v10, v17, v15, 16
	v_mul_f16_e32 v15, 0xb08e, v48
	v_mul_f16_e32 v12, 0xbbeb, v12
	v_pk_fma_f16 v17, 0x36a6bbad, v48, v14 op_sel_hi:[1,0,1]
	v_pk_add_f16 v2, v4, v2
	v_pk_add_f16 v4, v8, v10
	v_alignbit_b32 v8, v15, v11, 16
	v_alignbit_b32 v10, v12, v14, 16
	v_pk_fma_f16 v11, 0x36a6bbad, v48, v14 op_sel_hi:[1,0,1] neg_lo:[0,0,1] neg_hi:[0,0,1]
	v_fma_f16 v12, v48, 0xb08e, -v12
	v_perm_b32 v5, v17, v5, 0x5040100
	v_pk_fma_f16 v49, 0x3abbb93d, v48, v49 op_sel_hi:[1,0,1] neg_lo:[0,0,1] neg_hi:[0,0,1]
	v_pk_add_f16 v2, v4, v2
	v_pk_add_f16 v8, v8, v10
	;; [unrolled: 1-line block ×3, first 2 shown]
	v_add_f16_e32 v37, v12, v16
	v_pk_add_f16 v4, v5, v6
	v_pk_add_f16 v34, v49, v13
	;; [unrolled: 1-line block ×3, first 2 shown]
	v_alignbit_b32 v5, v33, v33, 16
	v_bfi_b32 v7, 0xffff, v37, v35
	v_lshrrev_b32_e32 v36, 16, v4
	global_wb scope:SCOPE_SE
	s_wait_dscnt 0x0
	s_barrier_signal -1
	s_barrier_wait -1
	global_inv scope:SCOPE_SE
	ds_store_b128 v9, v[4:7]
	ds_store_b32 v9, v34 offset:16
	ds_store_b16 v9, v35 offset:20
	global_wb scope:SCOPE_SE
	s_wait_dscnt 0x0
	s_barrier_signal -1
	s_barrier_wait -1
	global_inv scope:SCOPE_SE
                                        ; implicit-def: $vgpr5
                                        ; implicit-def: $vgpr38
                                        ; implicit-def: $vgpr39
                                        ; implicit-def: $vgpr40
                                        ; implicit-def: $vgpr41
	s_and_saveexec_b32 s1, s0
	s_cbranch_execnz .LBB0_16
; %bb.14:
	s_wait_alu 0xfffe
	s_or_b32 exec_lo, exec_lo, s1
	s_and_b32 s0, vcc_lo, s0
	s_wait_alu 0xfffe
	s_and_saveexec_b32 s1, s0
	s_cbranch_execnz .LBB0_17
.LBB0_15:
	s_endpgm
.LBB0_16:
	v_add3_u32 v2, 0, v1, v0
	v_add3_u32 v0, 0, v0, v1
	ds_load_u16 v33, v2 offset:66
	ds_load_u16 v35, v2 offset:220
	;; [unrolled: 1-line block ×6, first 2 shown]
	ds_load_u16 v4, v0
	ds_load_u16 v36, v2 offset:22
	s_wait_dscnt 0x7
	ds_load_u16_d16_hi v33, v2 offset:44
	s_wait_dscnt 0x7
	ds_load_u16_d16_hi v35, v2 offset:154
	ds_load_u16 v5, v2 offset:242
	ds_load_u16 v41, v2 offset:330
	s_wait_dscnt 0x9
	ds_load_u16_d16_hi v6, v2 offset:110
	ds_load_u16 v38, v2 offset:264
	s_wait_dscnt 0xa
	ds_load_u16_d16_hi v34, v2 offset:198
	ds_load_u16 v39, v2 offset:286
	s_wait_alu 0xfffe
	s_or_b32 exec_lo, exec_lo, s1
	s_and_b32 s0, vcc_lo, s0
	s_wait_alu 0xfffe
	s_and_saveexec_b32 s1, s0
	s_cbranch_execz .LBB0_15
.LBB0_17:
	v_add_nc_u32_e32 v65, 22, v21
	v_mul_u32_u24_e32 v0, 15, v21
	v_mad_co_u64_u32 v[46:47], null, s8, v21, 0
	v_add_nc_u32_e32 v66, 33, v21
	s_delay_alu instid0(VALU_DEP_4)
	v_mad_co_u64_u32 v[50:51], null, s8, v65, 0
	v_add_nc_u32_e32 v64, 11, v21
	v_add_nc_u32_e32 v67, 44, v21
	;; [unrolled: 1-line block ×4, first 2 shown]
	v_mad_co_u64_u32 v[52:53], null, s8, v66, 0
	v_mad_co_u64_u32 v[48:49], null, s8, v64, 0
	v_lshlrev_b32_e32 v0, 2, v0
	v_mad_co_u64_u32 v[54:55], null, s8, v67, 0
	v_mad_co_u64_u32 v[56:57], null, s8, v69, 0
	;; [unrolled: 1-line block ×4, first 2 shown]
	v_mov_b32_e32 v47, v49
	s_clause 0x3
	global_load_b128 v[7:10], v0, s[4:5] offset:16
	global_load_b128 v[11:14], v0, s[4:5]
	global_load_b128 v[15:18], v0, s[4:5] offset:32
	global_load_b96 v[0:2], v0, s[4:5] offset:48
	v_mov_b32_e32 v49, v51
	v_dual_mov_b32 v51, v53 :: v_dual_add_nc_u32 v80, 0x6e, v21
	v_mov_b32_e32 v53, v55
	v_dual_mov_b32 v55, v57 :: v_dual_add_nc_u32 v82, 0x79, v21
	v_add_nc_u32_e32 v73, 0x4d, v21
	v_add_nc_u32_e32 v75, 0x58, v21
	v_mad_co_u64_u32 v[63:64], null, s9, v64, v[47:48]
	v_mov_b32_e32 v47, v59
	v_add_nc_u32_e32 v79, 0x63, v21
	v_mad_co_u64_u32 v[64:65], null, s9, v65, v[49:50]
	v_mad_co_u64_u32 v[65:66], null, s9, v66, v[51:52]
	;; [unrolled: 1-line block ×8, first 2 shown]
	s_delay_alu instid0(VALU_DEP_4)
	v_mov_b32_e32 v53, v61
	v_mov_b32_e32 v47, v62
	;; [unrolled: 1-line block ×4, first 2 shown]
	v_mad_co_u64_u32 v[62:63], null, s8, v80, 0
	v_mov_b32_e32 v57, v72
	v_mov_b32_e32 v51, v64
	v_mad_co_u64_u32 v[73:74], null, s9, v73, v[53:54]
	v_mov_b32_e32 v53, v65
	v_mad_co_u64_u32 v[64:65], null, s9, v75, v[55:56]
	;; [unrolled: 2-line block ×3, first 2 shown]
	v_mov_b32_e32 v57, v69
	s_wait_dscnt 0x6
	v_lshrrev_b32_e32 v81, 16, v35
	v_mov_b32_e32 v59, v63
	s_wait_dscnt 0x3
	v_lshrrev_b32_e32 v77, 16, v6
	v_lshrrev_b32_e32 v78, 16, v3
	v_mov_b32_e32 v68, v64
	v_mov_b32_e32 v72, v65
	v_mad_co_u64_u32 v[74:75], null, s9, v80, v[59:60]
	v_mov_b32_e32 v59, v70
	v_lshrrev_b32_e32 v45, 16, v23
	v_lshrrev_b32_e32 v43, 16, v33
	v_mov_b32_e32 v61, v73
	v_lshlrev_b64_e32 v[64:65], 2, v[67:68]
	v_lshlrev_b64_e32 v[66:67], 2, v[71:72]
	v_lshrrev_b32_e32 v76, 16, v24
	s_wait_dscnt 0x1
	v_lshrrev_b32_e32 v44, 16, v34
	v_mov_b32_e32 v63, v74
	v_lshrrev_b32_e32 v42, 16, v25
	v_lshlrev_b64_e32 v[46:47], 2, v[46:47]
	v_add_co_u32 v19, vcc_lo, s10, v19
	s_wait_alu 0xfffd
	v_add_co_ci_u32_e32 v20, vcc_lo, s11, v20, vcc_lo
	v_lshlrev_b64_e32 v[48:49], 2, v[48:49]
	v_lshlrev_b64_e32 v[50:51], 2, v[50:51]
	v_add_co_u32 v46, vcc_lo, v19, v46
	s_wait_alu 0xfffd
	v_add_co_ci_u32_e32 v47, vcc_lo, v20, v47, vcc_lo
	v_lshlrev_b64_e32 v[52:53], 2, v[52:53]
	v_add_co_u32 v48, vcc_lo, v19, v48
	s_wait_alu 0xfffd
	v_add_co_ci_u32_e32 v49, vcc_lo, v20, v49, vcc_lo
	;; [unrolled: 4-line block ×6, first 2 shown]
	v_add_co_u32 v58, vcc_lo, v19, v58
	s_wait_alu 0xfffd
	v_add_co_ci_u32_e32 v59, vcc_lo, v20, v59, vcc_lo
	v_add_co_u32 v60, vcc_lo, v19, v60
	s_wait_alu 0xfffd
	v_add_co_ci_u32_e32 v61, vcc_lo, v20, v61, vcc_lo
	v_add_nc_u32_e32 v75, 0x8f, v21
	v_add_co_u32 v64, vcc_lo, v19, v64
	s_wait_alu 0xfffd
	v_add_co_ci_u32_e32 v65, vcc_lo, v20, v65, vcc_lo
	v_add_nc_u32_e32 v79, 0x84, v21
	v_add_co_u32 v66, vcc_lo, v19, v66
	s_wait_alu 0xfffd
	v_add_co_ci_u32_e32 v67, vcc_lo, v20, v67, vcc_lo
	s_wait_loadcnt 0x3
	v_lshrrev_b32_e32 v69, 16, v8
	v_mul_f16_e32 v83, v37, v8
	v_lshrrev_b32_e32 v70, 16, v9
	s_wait_loadcnt 0x0
	v_lshrrev_b32_e32 v86, 16, v1
	v_mul_f16_e32 v87, v81, v9
	v_mul_f16_e32 v37, v37, v69
	v_fmac_f16_e32 v83, v3, v69
	v_mul_f16_e32 v69, v40, v1
	v_mul_f16_e32 v88, v41, v2
	v_lshrrev_b32_e32 v68, 16, v7
	v_fma_f16 v3, v3, v8, -v37
	v_lshrrev_b32_e32 v37, 16, v2
	v_lshrrev_b32_e32 v71, 16, v10
	;; [unrolled: 1-line block ×5, first 2 shown]
	v_fmac_f16_e32 v69, v32, v86
	v_mul_f16_e32 v40, v40, v86
	v_mul_f16_e32 v86, v77, v7
	v_fmac_f16_e32 v87, v78, v70
	v_mul_f16_e32 v70, v81, v70
	s_wait_dscnt 0x0
	v_mul_f16_e32 v81, v39, v0
	v_fmac_f16_e32 v88, v30, v37
	v_mul_f16_e32 v37, v41, v37
	v_mul_f16_e32 v41, v38, v18
	v_lshrrev_b32_e32 v72, 16, v11
	v_fmac_f16_e32 v86, v26, v68
	v_mul_f16_e32 v68, v77, v68
	v_lshrrev_b32_e32 v77, 16, v16
	v_fmac_f16_e32 v81, v28, v8
	v_mul_f16_e32 v8, v39, v8
	v_mul_f16_e32 v39, v34, v71
	v_fmac_f16_e32 v41, v27, v85
	v_mul_f16_e32 v38, v38, v85
	v_mul_f16_e32 v85, v43, v73
	;; [unrolled: 1-line block ×3, first 2 shown]
	v_lshrrev_b32_e32 v74, 16, v13
	v_lshrrev_b32_e32 v80, 16, v14
	v_mul_f16_e32 v71, v29, v71
	v_fma_f16 v29, v29, v10, -v39
	v_mul_f16_e32 v39, v35, v77
	v_fma_f16 v45, v45, v12, -v85
	v_lshrrev_b32_e32 v85, 16, v15
	v_mul_f16_e32 v77, v24, v77
	v_lshrrev_b32_e32 v89, 16, v17
	v_fmac_f16_e32 v73, v43, v12
	v_mul_f16_e32 v12, v36, v72
	v_mul_f16_e32 v84, v6, v14
	v_fma_f16 v39, v24, v16, -v39
	v_fmac_f16_e32 v77, v35, v16
	v_mul_f16_e32 v16, v44, v85
	v_fma_f16 v1, v32, v1, -v40
	v_mul_f16_e32 v24, v33, v74
	v_mul_f16_e32 v35, v23, v72
	v_fma_f16 v40, v23, v11, -v12
	v_mul_f16_e32 v12, v5, v89
	v_mul_f16_e32 v43, v25, v74
	;; [unrolled: 1-line block ×5, first 2 shown]
	v_fma_f16 v16, v76, v15, -v16
	v_fma_f16 v25, v25, v13, -v24
	v_fmac_f16_e32 v84, v42, v80
	v_fma_f16 v76, v31, v17, -v12
	v_fmac_f16_e32 v43, v33, v13
	v_fmac_f16_e32 v74, v5, v17
	v_fma_f16 v5, v78, v9, -v70
	v_fma_f16 v2, v30, v2, -v37
	v_fmac_f16_e32 v35, v36, v11
	v_fmac_f16_e32 v72, v44, v15
	v_fma_f16 v7, v26, v7, -v68
	v_fma_f16 v0, v28, v0, -v8
	v_fmac_f16_e32 v71, v34, v10
	v_fma_f16 v6, v42, v14, -v6
	v_fma_f16 v8, v27, v18, -v38
	v_lshlrev_b64_e32 v[31:32], 2, v[62:63]
	v_sub_f16_e32 v33, v84, v41
	v_sub_f16_e32 v41, v83, v69
	;; [unrolled: 1-line block ×16, first 2 shown]
	v_fma_f16 v26, v83, 2.0, -v41
	v_fma_f16 v27, v87, 2.0, -v63
	;; [unrolled: 1-line block ×4, first 2 shown]
	v_sub_f16_e32 v30, v9, v33
	v_sub_f16_e32 v33, v10, v41
	v_add_f16_e32 v34, v11, v1
	v_sub_f16_e32 v36, v14, v62
	v_sub_f16_e32 v37, v15, v63
	v_add_f16_e32 v38, v16, v2
	v_add_f16_e32 v39, v17, v0
	;; [unrolled: 1-line block ×3, first 2 shown]
	v_fma_f16 v22, v22, 2.0, -v9
	v_fma_f16 v6, v6, 2.0, -v8
	;; [unrolled: 1-line block ×12, first 2 shown]
	v_fmamk_f16 v3, v33, 0x39a8, v30
	v_fmamk_f16 v42, v37, 0x39a8, v36
	;; [unrolled: 1-line block ×4, first 2 shown]
	v_fma_f16 v9, v9, 2.0, -v30
	v_fma_f16 v10, v10, 2.0, -v33
	;; [unrolled: 1-line block ×8, first 2 shown]
	v_sub_f16_e32 v6, v22, v6
	v_sub_f16_e32 v26, v8, v26
	;; [unrolled: 1-line block ×8, first 2 shown]
	v_fmac_f16_e32 v3, 0xb9a8, v34
	v_fmac_f16_e32 v42, 0xb9a8, v38
	;; [unrolled: 1-line block ×4, first 2 shown]
	v_fmamk_f16 v33, v10, 0xb9a8, v9
	v_fmamk_f16 v34, v15, 0xb9a8, v14
	;; [unrolled: 1-line block ×4, first 2 shown]
	v_sub_f16_e32 v45, v6, v26
	v_sub_f16_e32 v62, v0, v27
	v_add_f16_e32 v63, v28, v2
	v_add_f16_e32 v68, v29, v1
	v_fma_f16 v22, v22, 2.0, -v6
	v_fma_f16 v1, v5, 2.0, -v1
	;; [unrolled: 1-line block ×11, first 2 shown]
	v_fmac_f16_e32 v33, 0xb9a8, v11
	v_fmac_f16_e32 v34, 0xb9a8, v16
	;; [unrolled: 1-line block ×4, first 2 shown]
	v_fmamk_f16 v15, v42, 0x3b64, v3
	v_fmamk_f16 v16, v43, 0x3b64, v44
	;; [unrolled: 1-line block ×4, first 2 shown]
	v_fma_f16 v6, v6, 2.0, -v45
	v_fma_f16 v0, v0, 2.0, -v62
	;; [unrolled: 1-line block ×4, first 2 shown]
	v_sub_f16_e32 v1, v22, v1
	v_sub_f16_e32 v7, v5, v7
	;; [unrolled: 1-line block ×4, first 2 shown]
	v_fmac_f16_e32 v15, 0xb61f, v43
	v_fmac_f16_e32 v16, 0x361f, v42
	;; [unrolled: 1-line block ×4, first 2 shown]
	v_fmamk_f16 v42, v0, 0xb9a8, v6
	v_fmamk_f16 v43, v10, 0xb9a8, v11
	v_sub_f16_e32 v62, v1, v7
	v_add_f16_e32 v63, v8, v2
	v_fma_f16 v9, v9, 2.0, -v33
	v_fma_f16 v14, v14, 2.0, -v34
	;; [unrolled: 1-line block ×9, first 2 shown]
	v_fmac_f16_e32 v42, 0xb9a8, v10
	v_fmac_f16_e32 v43, 0x39a8, v0
	v_fma_f16 v0, v1, 2.0, -v62
	v_fma_f16 v1, v8, 2.0, -v63
	v_fmamk_f16 v8, v14, 0xbb64, v9
	v_fmamk_f16 v10, v17, 0xbb64, v18
	v_fmamk_f16 v28, v27, 0xb61f, v25
	v_fmamk_f16 v29, v30, 0xb61f, v35
	v_fmamk_f16 v40, v34, 0x361f, v33
	v_fmamk_f16 v41, v37, 0x361f, v38
	v_sub_f16_e32 v2, v22, v2
	v_sub_f16_e32 v5, v4, v5
	v_fmac_f16_e32 v8, 0xb61f, v17
	v_fmac_f16_e32 v10, 0x361f, v14
	;; [unrolled: 1-line block ×6, first 2 shown]
	v_fma_f16 v14, v22, 2.0, -v2
	v_fma_f16 v4, v4, 2.0, -v5
	;; [unrolled: 1-line block ×10, first 2 shown]
	v_mad_co_u64_u32 v[23:24], null, s8, v82, 0
	v_fma_f16 v26, v45, 2.0, -v36
	v_fma_f16 v27, v68, 2.0, -v39
	v_fma_f16 v30, v33, 2.0, -v40
	v_fma_f16 v33, v38, 2.0, -v41
	v_pack_b32_f16 v4, v14, v4
	v_pack_b32_f16 v2, v2, v5
	;; [unrolled: 1-line block ×10, first 2 shown]
	s_clause 0x9
	global_store_b32 v[46:47], v4, off
	global_store_b32 v[48:49], v6, off
	;; [unrolled: 1-line block ×10, first 2 shown]
	v_mad_co_u64_u32 v[3:4], null, s8, v75, 0
	v_mad_co_u64_u32 v[12:13], null, s8, v79, 0
	v_dual_mov_b32 v2, v24 :: v_dual_add_nc_u32 v11, 0x9a, v21
	v_add_nc_u32_e32 v14, 0xa5, v21
	v_add_co_u32 v0, vcc_lo, v19, v31
	s_delay_alu instid0(VALU_DEP_3)
	v_mad_co_u64_u32 v[6:7], null, s9, v82, v[2:3]
	v_dual_mov_b32 v5, v13 :: v_dual_mov_b32 v2, v4
	s_wait_alu 0xfffd
	v_add_co_ci_u32_e32 v1, vcc_lo, v20, v32, vcc_lo
	v_pack_b32_f16 v10, v42, v43
	v_pack_b32_f16 v17, v28, v29
	v_mad_co_u64_u32 v[7:8], null, s9, v79, v[5:6]
	v_mad_co_u64_u32 v[8:9], null, s8, v11, 0
	;; [unrolled: 1-line block ×3, first 2 shown]
	v_mov_b32_e32 v24, v6
	v_mad_co_u64_u32 v[5:6], null, s8, v14, 0
	global_store_b32 v[0:1], v10, off
	v_dual_mov_b32 v2, v9 :: v_dual_mov_b32 v13, v7
	v_lshlrev_b64_e32 v[0:1], 2, v[23:24]
	s_delay_alu instid0(VALU_DEP_2)
	v_mad_co_u64_u32 v[9:10], null, s9, v11, v[2:3]
	v_lshlrev_b64_e32 v[3:4], 2, v[3:4]
	v_mov_b32_e32 v2, v6
	v_lshlrev_b64_e32 v[6:7], 2, v[12:13]
	v_add_co_u32 v0, vcc_lo, v19, v0
	s_wait_alu 0xfffd
	v_add_co_ci_u32_e32 v1, vcc_lo, v20, v1, vcc_lo
	v_mad_co_u64_u32 v[10:11], null, s9, v14, v[2:3]
	s_delay_alu instid0(VALU_DEP_4)
	v_add_co_u32 v11, vcc_lo, v19, v6
	s_wait_alu 0xfffd
	v_add_co_ci_u32_e32 v12, vcc_lo, v20, v7, vcc_lo
	v_lshlrev_b64_e32 v[7:8], 2, v[8:9]
	v_add_co_u32 v2, vcc_lo, v19, v3
	v_mov_b32_e32 v6, v10
	s_wait_alu 0xfffd
	v_add_co_ci_u32_e32 v3, vcc_lo, v20, v4, vcc_lo
	v_pack_b32_f16 v13, v62, v63
	v_pack_b32_f16 v9, v40, v41
	v_lshlrev_b64_e32 v[4:5], 2, v[5:6]
	v_add_co_u32 v6, vcc_lo, v19, v7
	s_wait_alu 0xfffd
	v_add_co_ci_u32_e32 v7, vcc_lo, v20, v8, vcc_lo
	v_pack_b32_f16 v8, v36, v39
	s_delay_alu instid0(VALU_DEP_4)
	v_add_co_u32 v4, vcc_lo, v19, v4
	s_wait_alu 0xfffd
	v_add_co_ci_u32_e32 v5, vcc_lo, v20, v5, vcc_lo
	v_pack_b32_f16 v10, v15, v16
	s_clause 0x4
	global_store_b32 v[0:1], v17, off
	global_store_b32 v[11:12], v13, off
	;; [unrolled: 1-line block ×5, first 2 shown]
	s_nop 0
	s_sendmsg sendmsg(MSG_DEALLOC_VGPRS)
	s_endpgm
	.section	.rodata,"a",@progbits
	.p2align	6, 0x0
	.amdhsa_kernel fft_rtc_fwd_len176_factors_11_16_wgs_64_tpt_16_halfLds_half_ip_CI_sbrr_dirReg
		.amdhsa_group_segment_fixed_size 0
		.amdhsa_private_segment_fixed_size 0
		.amdhsa_kernarg_size 88
		.amdhsa_user_sgpr_count 2
		.amdhsa_user_sgpr_dispatch_ptr 0
		.amdhsa_user_sgpr_queue_ptr 0
		.amdhsa_user_sgpr_kernarg_segment_ptr 1
		.amdhsa_user_sgpr_dispatch_id 0
		.amdhsa_user_sgpr_private_segment_size 0
		.amdhsa_wavefront_size32 1
		.amdhsa_uses_dynamic_stack 0
		.amdhsa_enable_private_segment 0
		.amdhsa_system_sgpr_workgroup_id_x 1
		.amdhsa_system_sgpr_workgroup_id_y 0
		.amdhsa_system_sgpr_workgroup_id_z 0
		.amdhsa_system_sgpr_workgroup_info 0
		.amdhsa_system_vgpr_workitem_id 0
		.amdhsa_next_free_vgpr 90
		.amdhsa_next_free_sgpr 35
		.amdhsa_reserve_vcc 1
		.amdhsa_float_round_mode_32 0
		.amdhsa_float_round_mode_16_64 0
		.amdhsa_float_denorm_mode_32 3
		.amdhsa_float_denorm_mode_16_64 3
		.amdhsa_fp16_overflow 0
		.amdhsa_workgroup_processor_mode 1
		.amdhsa_memory_ordered 1
		.amdhsa_forward_progress 0
		.amdhsa_round_robin_scheduling 0
		.amdhsa_exception_fp_ieee_invalid_op 0
		.amdhsa_exception_fp_denorm_src 0
		.amdhsa_exception_fp_ieee_div_zero 0
		.amdhsa_exception_fp_ieee_overflow 0
		.amdhsa_exception_fp_ieee_underflow 0
		.amdhsa_exception_fp_ieee_inexact 0
		.amdhsa_exception_int_div_zero 0
	.end_amdhsa_kernel
	.text
.Lfunc_end0:
	.size	fft_rtc_fwd_len176_factors_11_16_wgs_64_tpt_16_halfLds_half_ip_CI_sbrr_dirReg, .Lfunc_end0-fft_rtc_fwd_len176_factors_11_16_wgs_64_tpt_16_halfLds_half_ip_CI_sbrr_dirReg
                                        ; -- End function
	.section	.AMDGPU.csdata,"",@progbits
; Kernel info:
; codeLenInByte = 7432
; NumSgprs: 37
; NumVgprs: 90
; ScratchSize: 0
; MemoryBound: 0
; FloatMode: 240
; IeeeMode: 1
; LDSByteSize: 0 bytes/workgroup (compile time only)
; SGPRBlocks: 4
; VGPRBlocks: 11
; NumSGPRsForWavesPerEU: 37
; NumVGPRsForWavesPerEU: 90
; Occupancy: 16
; WaveLimiterHint : 1
; COMPUTE_PGM_RSRC2:SCRATCH_EN: 0
; COMPUTE_PGM_RSRC2:USER_SGPR: 2
; COMPUTE_PGM_RSRC2:TRAP_HANDLER: 0
; COMPUTE_PGM_RSRC2:TGID_X_EN: 1
; COMPUTE_PGM_RSRC2:TGID_Y_EN: 0
; COMPUTE_PGM_RSRC2:TGID_Z_EN: 0
; COMPUTE_PGM_RSRC2:TIDIG_COMP_CNT: 0
	.text
	.p2alignl 7, 3214868480
	.fill 96, 4, 3214868480
	.type	__hip_cuid_27e68e491c10d3cf,@object ; @__hip_cuid_27e68e491c10d3cf
	.section	.bss,"aw",@nobits
	.globl	__hip_cuid_27e68e491c10d3cf
__hip_cuid_27e68e491c10d3cf:
	.byte	0                               ; 0x0
	.size	__hip_cuid_27e68e491c10d3cf, 1

	.ident	"AMD clang version 19.0.0git (https://github.com/RadeonOpenCompute/llvm-project roc-6.4.0 25133 c7fe45cf4b819c5991fe208aaa96edf142730f1d)"
	.section	".note.GNU-stack","",@progbits
	.addrsig
	.addrsig_sym __hip_cuid_27e68e491c10d3cf
	.amdgpu_metadata
---
amdhsa.kernels:
  - .args:
      - .actual_access:  read_only
        .address_space:  global
        .offset:         0
        .size:           8
        .value_kind:     global_buffer
      - .offset:         8
        .size:           8
        .value_kind:     by_value
      - .actual_access:  read_only
        .address_space:  global
        .offset:         16
        .size:           8
        .value_kind:     global_buffer
      - .actual_access:  read_only
        .address_space:  global
        .offset:         24
        .size:           8
        .value_kind:     global_buffer
      - .offset:         32
        .size:           8
        .value_kind:     by_value
      - .actual_access:  read_only
        .address_space:  global
        .offset:         40
        .size:           8
        .value_kind:     global_buffer
      - .actual_access:  read_only
        .address_space:  global
        .offset:         48
        .size:           8
        .value_kind:     global_buffer
      - .offset:         56
        .size:           4
        .value_kind:     by_value
      - .actual_access:  read_only
        .address_space:  global
        .offset:         64
        .size:           8
        .value_kind:     global_buffer
      - .actual_access:  read_only
        .address_space:  global
        .offset:         72
        .size:           8
        .value_kind:     global_buffer
      - .address_space:  global
        .offset:         80
        .size:           8
        .value_kind:     global_buffer
    .group_segment_fixed_size: 0
    .kernarg_segment_align: 8
    .kernarg_segment_size: 88
    .language:       OpenCL C
    .language_version:
      - 2
      - 0
    .max_flat_workgroup_size: 64
    .name:           fft_rtc_fwd_len176_factors_11_16_wgs_64_tpt_16_halfLds_half_ip_CI_sbrr_dirReg
    .private_segment_fixed_size: 0
    .sgpr_count:     37
    .sgpr_spill_count: 0
    .symbol:         fft_rtc_fwd_len176_factors_11_16_wgs_64_tpt_16_halfLds_half_ip_CI_sbrr_dirReg.kd
    .uniform_work_group_size: 1
    .uses_dynamic_stack: false
    .vgpr_count:     90
    .vgpr_spill_count: 0
    .wavefront_size: 32
    .workgroup_processor_mode: 1
amdhsa.target:   amdgcn-amd-amdhsa--gfx1201
amdhsa.version:
  - 1
  - 2
...

	.end_amdgpu_metadata
